;; amdgpu-corpus repo=ROCm/rocFFT kind=compiled arch=gfx1030 opt=O3
	.text
	.amdgcn_target "amdgcn-amd-amdhsa--gfx1030"
	.amdhsa_code_object_version 6
	.protected	bluestein_single_back_len189_dim1_dp_op_CI_CI ; -- Begin function bluestein_single_back_len189_dim1_dp_op_CI_CI
	.globl	bluestein_single_back_len189_dim1_dp_op_CI_CI
	.p2align	8
	.type	bluestein_single_back_len189_dim1_dp_op_CI_CI,@function
bluestein_single_back_len189_dim1_dp_op_CI_CI: ; @bluestein_single_back_len189_dim1_dp_op_CI_CI
; %bb.0:
	s_load_dwordx4 s[12:15], s[4:5], 0x28
	v_mul_u32_u24_e32 v1, 0xc31, v0
	s_mov_b32 s0, exec_lo
	v_lshrrev_b32_e32 v1, 16, v1
	v_mad_u64_u32 v[152:153], null, s6, 3, v[1:2]
	v_mov_b32_e32 v153, 0
	s_waitcnt lgkmcnt(0)
	v_cmpx_gt_u64_e64 s[12:13], v[152:153]
	s_cbranch_execz .LBB0_15
; %bb.1:
	s_load_dwordx4 s[8:11], s[4:5], 0x18
	v_mul_lo_u16 v1, v1, 21
	v_mul_hi_u32 v60, 0xaaaaaaab, v152
	v_sub_nc_u16 v88, v0, v1
	v_lshrrev_b32_e32 v60, 1, v60
	v_and_b32_e32 v155, 0xffff, v88
	v_lshl_add_u32 v90, v60, 1, v60
	v_lshlrev_b32_e32 v89, 4, v155
	v_or_b32_e32 v153, 48, v155
	v_sub_nc_u32_e32 v90, v152, v90
	s_waitcnt lgkmcnt(0)
	s_load_dwordx4 s[0:3], s[8:9], 0x0
	s_load_dwordx2 s[8:9], s[4:5], 0x0
	v_mul_u32_u24_e32 v90, 0xbd, v90
	v_lshlrev_b32_e32 v156, 4, v90
	v_add_nc_u32_e32 v154, v89, v156
	s_waitcnt lgkmcnt(0)
	v_mad_u64_u32 v[8:9], null, s2, v152, 0
	v_mad_u64_u32 v[10:11], null, s0, v155, 0
	v_add_co_u32 v148, s2, s8, v89
	s_mul_hi_u32 s6, s0, 27
	v_add_co_ci_u32_e64 v149, null, s9, 0, s2
	v_mov_b32_e32 v0, v9
	s_mul_i32 s2, s0, 27
	v_mad_u64_u32 v[0:1], null, s3, v152, v[0:1]
	v_mov_b32_e32 v1, v11
	s_mul_i32 s3, s1, 27
	s_add_i32 s3, s6, s3
	v_mad_u64_u32 v[11:12], null, s1, v155, v[1:2]
	v_mov_b32_e32 v9, v0
	s_lshl_b64 s[6:7], s[2:3], 4
	s_clause 0x1
	global_load_dwordx4 v[0:3], v89, s[8:9]
	global_load_dwordx4 v[4:7], v89, s[8:9] offset:432
	v_lshlrev_b64 v[8:9], 4, v[8:9]
	v_lshlrev_b64 v[10:11], 4, v[10:11]
	v_add_co_u32 v30, vcc_lo, s14, v8
	v_add_co_ci_u32_e32 v31, vcc_lo, s15, v9, vcc_lo
	v_add_co_u32 v20, vcc_lo, v30, v10
	v_add_co_ci_u32_e32 v21, vcc_lo, v31, v11, vcc_lo
	s_clause 0x1
	global_load_dwordx4 v[8:11], v89, s[8:9] offset:864
	global_load_dwordx4 v[12:15], v89, s[8:9] offset:1296
	v_add_co_u32 v22, vcc_lo, v20, s6
	v_add_co_ci_u32_e32 v23, vcc_lo, s7, v21, vcc_lo
	global_load_dwordx4 v[16:19], v89, s[8:9] offset:1728
	v_add_co_u32 v24, vcc_lo, v22, s6
	v_add_co_ci_u32_e32 v25, vcc_lo, s7, v23, vcc_lo
	s_clause 0x1
	global_load_dwordx4 v[32:35], v[20:21], off
	global_load_dwordx4 v[36:39], v[22:23], off
	v_add_co_u32 v26, vcc_lo, v24, s6
	v_add_co_ci_u32_e32 v27, vcc_lo, s7, v25, vcc_lo
	v_add_co_u32 v150, vcc_lo, 0x800, v148
	v_add_co_ci_u32_e32 v151, vcc_lo, 0, v149, vcc_lo
	;; [unrolled: 2-line block ×3, first 2 shown]
	s_clause 0x1
	global_load_dwordx4 v[40:43], v[24:25], off
	global_load_dwordx4 v[44:47], v[26:27], off
	v_add_co_u32 v20, vcc_lo, v48, s6
	v_add_co_ci_u32_e32 v21, vcc_lo, s7, v49, vcc_lo
	v_add_co_u32 v28, vcc_lo, v20, s6
	v_add_co_ci_u32_e32 v29, vcc_lo, s7, v21, vcc_lo
	global_load_dwordx4 v[48:51], v[48:49], off
	global_load_dwordx4 v[52:55], v[20:21], off
	s_clause 0x1
	global_load_dwordx4 v[20:23], v[150:151], off offset:112
	global_load_dwordx4 v[24:27], v[150:151], off offset:544
	global_load_dwordx4 v[56:59], v[28:29], off
	s_load_dwordx2 s[2:3], s[4:5], 0x38
	s_load_dwordx4 s[8:11], s[10:11], 0x0
	v_cmp_gt_u16_e32 vcc_lo, 6, v88
	s_waitcnt vmcnt(8)
	v_mul_f64 v[60:61], v[34:35], v[2:3]
	v_mul_f64 v[62:63], v[32:33], v[2:3]
	s_waitcnt vmcnt(7)
	v_mul_f64 v[64:65], v[38:39], v[6:7]
	v_mul_f64 v[66:67], v[36:37], v[6:7]
	s_waitcnt vmcnt(6)
	v_mul_f64 v[68:69], v[42:43], v[10:11]
	s_waitcnt vmcnt(5)
	v_mul_f64 v[72:73], v[46:47], v[14:15]
	v_mul_f64 v[74:75], v[44:45], v[14:15]
	;; [unrolled: 1-line block ×3, first 2 shown]
	s_waitcnt vmcnt(4)
	v_mul_f64 v[76:77], v[50:51], v[18:19]
	v_mul_f64 v[78:79], v[48:49], v[18:19]
	s_waitcnt vmcnt(2)
	v_mul_f64 v[80:81], v[54:55], v[22:23]
	v_mul_f64 v[82:83], v[52:53], v[22:23]
	;; [unrolled: 3-line block ×3, first 2 shown]
	v_fma_f64 v[32:33], v[32:33], v[0:1], v[60:61]
	v_fma_f64 v[34:35], v[34:35], v[0:1], -v[62:63]
	v_fma_f64 v[36:37], v[36:37], v[4:5], v[64:65]
	v_fma_f64 v[38:39], v[38:39], v[4:5], -v[66:67]
	v_fma_f64 v[40:41], v[40:41], v[8:9], v[68:69]
	v_fma_f64 v[44:45], v[44:45], v[12:13], v[72:73]
	v_fma_f64 v[46:47], v[46:47], v[12:13], -v[74:75]
	v_fma_f64 v[42:43], v[42:43], v[8:9], -v[70:71]
	ds_write_b128 v154, v[32:35]
	ds_write_b128 v154, v[36:39] offset:432
	ds_write_b128 v154, v[40:43] offset:864
	v_fma_f64 v[48:49], v[48:49], v[16:17], v[76:77]
	v_fma_f64 v[50:51], v[50:51], v[16:17], -v[78:79]
	v_fma_f64 v[52:53], v[52:53], v[20:21], v[80:81]
	v_fma_f64 v[54:55], v[54:55], v[20:21], -v[82:83]
	;; [unrolled: 2-line block ×3, first 2 shown]
	ds_write_b128 v154, v[44:47] offset:1296
	ds_write_b128 v154, v[48:51] offset:1728
	;; [unrolled: 1-line block ×4, first 2 shown]
	s_and_saveexec_b32 s12, vcc_lo
	s_cbranch_execz .LBB0_3
; %bb.2:
	v_mad_u64_u32 v[32:33], null, s0, v153, 0
	v_mad_u64_u32 v[44:45], null, 0xfffff730, s0, v[28:29]
	s_mul_i32 s13, s1, 0xfffff730
	s_sub_i32 s13, s13, s0
	v_mov_b32_e32 v28, v33
	v_add_nc_u32_e32 v45, s13, v45
	v_mad_u64_u32 v[28:29], null, s1, v153, v[28:29]
	v_mad_u64_u32 v[52:53], null, 0x360, s0, v[44:45]
	v_mov_b32_e32 v33, v28
	v_mov_b32_e32 v28, v53
	v_lshlrev_b64 v[40:41], 4, v[32:33]
	s_clause 0x1
	global_load_dwordx4 v[32:35], v[148:149], off offset:336
	global_load_dwordx4 v[36:39], v[148:149], off offset:768
	v_mad_u64_u32 v[48:49], null, 0x360, s1, v[28:29]
	v_add_co_u32 v49, s0, v30, v40
	v_add_co_ci_u32_e64 v50, s0, v31, v41, s0
	v_mov_b32_e32 v53, v48
	v_add_co_u32 v56, s0, v52, s6
	s_clause 0x1
	global_load_dwordx4 v[28:31], v[148:149], off offset:1200
	global_load_dwordx4 v[40:43], v[148:149], off offset:1632
	global_load_dwordx4 v[44:47], v[44:45], off
	global_load_dwordx4 v[48:51], v[49:50], off
	v_add_co_ci_u32_e64 v57, s0, s7, v53, s0
	v_add_co_u32 v60, s0, v56, s6
	global_load_dwordx4 v[52:55], v[52:53], off
	v_add_co_ci_u32_e64 v61, s0, s7, v57, s0
	v_add_co_u32 v72, s0, v60, s6
	;; [unrolled: 3-line block ×3, first 2 shown]
	global_load_dwordx4 v[60:63], v[60:61], off
	v_add_co_ci_u32_e64 v81, s0, s7, v73, s0
	s_clause 0x1
	global_load_dwordx4 v[64:67], v[150:151], off offset:16
	global_load_dwordx4 v[68:71], v[150:151], off offset:448
	global_load_dwordx4 v[72:75], v[72:73], off
	global_load_dwordx4 v[76:79], v[150:151], off offset:880
	global_load_dwordx4 v[80:83], v[80:81], off
	s_waitcnt vmcnt(9)
	v_mul_f64 v[84:85], v[46:47], v[34:35]
	v_mul_f64 v[34:35], v[44:45], v[34:35]
	s_waitcnt vmcnt(8)
	v_mul_f64 v[86:87], v[50:51], v[38:39]
	v_mul_f64 v[38:39], v[48:49], v[38:39]
	;; [unrolled: 3-line block ×7, first 2 shown]
	v_fma_f64 v[30:31], v[44:45], v[32:33], v[84:85]
	v_fma_f64 v[32:33], v[46:47], v[32:33], -v[34:35]
	v_fma_f64 v[34:35], v[48:49], v[36:37], v[86:87]
	v_fma_f64 v[36:37], v[50:51], v[36:37], -v[38:39]
	;; [unrolled: 2-line block ×7, first 2 shown]
	ds_write_b128 v154, v[30:33] offset:336
	ds_write_b128 v154, v[34:37] offset:768
	ds_write_b128 v154, v[42:45] offset:1200
	ds_write_b128 v154, v[38:41] offset:1632
	ds_write_b128 v154, v[46:49] offset:2064
	ds_write_b128 v154, v[50:53] offset:2496
	ds_write_b128 v154, v[54:57] offset:2928
.LBB0_3:
	s_or_b32 exec_lo, exec_lo, s12
	s_waitcnt lgkmcnt(0)
	s_barrier
	buffer_gl0_inv
	ds_read_b128 v[32:35], v154
	ds_read_b128 v[72:75], v154 offset:432
	ds_read_b128 v[68:71], v154 offset:864
	;; [unrolled: 1-line block ×6, first 2 shown]
	s_load_dwordx2 s[0:1], s[4:5], 0x8
                                        ; implicit-def: $vgpr28_vgpr29
                                        ; implicit-def: $vgpr36_vgpr37
                                        ; implicit-def: $vgpr40_vgpr41
                                        ; implicit-def: $vgpr44_vgpr45
                                        ; implicit-def: $vgpr48_vgpr49
                                        ; implicit-def: $vgpr52_vgpr53
                                        ; implicit-def: $vgpr56_vgpr57
	s_and_saveexec_b32 s4, vcc_lo
	s_cbranch_execz .LBB0_5
; %bb.4:
	ds_read_b128 v[28:31], v154 offset:336
	ds_read_b128 v[36:39], v154 offset:768
	;; [unrolled: 1-line block ×7, first 2 shown]
.LBB0_5:
	s_or_b32 exec_lo, exec_lo, s4
	s_waitcnt lgkmcnt(0)
	v_add_f64 v[84:85], v[72:73], v[80:81]
	v_add_f64 v[86:87], v[74:75], v[82:83]
	;; [unrolled: 1-line block ×4, first 2 shown]
	v_add_f64 v[72:73], v[72:73], -v[80:81]
	v_add_f64 v[74:75], v[74:75], -v[82:83]
	;; [unrolled: 1-line block ×4, first 2 shown]
	v_add_f64 v[76:77], v[60:61], v[64:65]
	v_add_f64 v[78:79], v[62:63], v[66:67]
	v_add_f64 v[60:61], v[64:65], -v[60:61]
	v_add_f64 v[62:63], v[66:67], -v[62:63]
	v_add_f64 v[80:81], v[36:37], v[56:57]
	v_add_f64 v[82:83], v[38:39], v[58:59]
	v_add_f64 v[36:37], v[36:37], -v[56:57]
	v_add_f64 v[38:39], v[38:39], -v[58:59]
	v_add_f64 v[56:57], v[40:41], v[52:53]
	v_add_f64 v[58:59], v[42:43], v[54:55]
	v_add_f64 v[40:41], v[40:41], -v[52:53]
	v_add_f64 v[42:43], v[42:43], -v[54:55]
	v_add_f64 v[92:93], v[44:45], v[48:49]
	v_add_f64 v[98:99], v[46:47], v[50:51]
	v_add_f64 v[44:45], v[48:49], -v[44:45]
	v_add_f64 v[46:47], v[50:51], -v[46:47]
	v_add_f64 v[64:65], v[88:89], v[84:85]
	v_add_f64 v[66:67], v[90:91], v[86:87]
	v_add_f64 v[50:51], v[88:89], -v[84:85]
	s_mov_b32 s12, 0x37e14327
	s_mov_b32 s4, 0x36b3c0b5
	;; [unrolled: 1-line block ×3, first 2 shown]
	v_add_f64 v[52:53], v[84:85], -v[76:77]
	v_add_f64 v[54:55], v[86:87], -v[78:79]
	;; [unrolled: 1-line block ×5, first 2 shown]
	v_add_f64 v[84:85], v[60:61], v[68:69]
	s_mov_b32 s13, 0x3fe948f6
	s_mov_b32 s5, 0x3fac98ee
	v_add_f64 v[88:89], v[56:57], v[80:81]
	s_mov_b32 s15, 0xbfe11646
	v_add_f64 v[60:61], v[72:73], -v[60:61]
	v_add_f64 v[68:69], v[68:69], -v[72:73]
	;; [unrolled: 1-line block ×6, first 2 shown]
	v_add_f64 v[64:65], v[76:77], v[64:65]
	v_add_f64 v[66:67], v[78:79], v[66:67]
	v_add_f64 v[76:77], v[62:63], -v[70:71]
	v_add_f64 v[78:79], v[90:91], -v[86:87]
	v_add_f64 v[90:91], v[58:59], v[82:83]
	v_add_f64 v[86:87], v[62:63], v[70:71]
	v_add_f64 v[70:71], v[70:71], -v[74:75]
	v_mul_f64 v[100:101], v[52:53], s[12:13]
	v_mul_f64 v[102:103], v[54:55], s[12:13]
	;; [unrolled: 1-line block ×4, first 2 shown]
	v_add_f64 v[116:117], v[40:41], -v[36:37]
	v_add_f64 v[118:119], v[42:43], -v[38:39]
	v_add_f64 v[72:73], v[84:85], v[72:73]
	v_add_f64 v[84:85], v[92:93], v[88:89]
	s_mov_b32 s6, 0x429ad128
	s_mov_b32 s16, 0xaaaaaaaa
	;; [unrolled: 1-line block ×7, first 2 shown]
	v_add_f64 v[52:53], v[32:33], v[64:65]
	v_add_f64 v[54:55], v[34:35], v[66:67]
	v_add_f64 v[32:33], v[82:83], -v[98:99]
	v_mul_f64 v[34:35], v[48:49], s[14:15]
	v_mul_f64 v[48:49], v[76:77], s[14:15]
	v_add_f64 v[76:77], v[92:93], -v[56:57]
	v_add_f64 v[88:89], v[98:99], v[90:91]
	s_mov_b32 s23, 0xbfe77f67
	s_mov_b32 s19, 0x3fd5d0dc
	;; [unrolled: 1-line block ×3, first 2 shown]
	v_add_f64 v[62:63], v[74:75], -v[62:63]
	v_add_f64 v[74:75], v[86:87], v[74:75]
	v_mul_f64 v[86:87], v[68:69], s[6:7]
	v_mul_f64 v[90:91], v[70:71], s[6:7]
	v_fma_f64 v[92:93], v[94:95], s[4:5], v[100:101]
	v_fma_f64 v[94:95], v[96:97], s[4:5], v[102:103]
	v_fma_f64 v[96:97], v[50:51], s[20:21], -v[104:105]
	v_fma_f64 v[98:99], v[78:79], s[20:21], -v[106:107]
	;; [unrolled: 1-line block ×4, first 2 shown]
	v_add_f64 v[56:57], v[56:57], -v[80:81]
	v_add_f64 v[58:59], v[58:59], -v[82:83]
	v_fma_f64 v[64:65], v[64:65], s[16:17], v[52:53]
	v_fma_f64 v[66:67], v[66:67], s[16:17], v[54:55]
	v_add_f64 v[80:81], v[46:47], v[42:43]
	v_fma_f64 v[100:101], v[60:61], s[18:19], v[34:35]
	v_fma_f64 v[34:35], v[68:69], s[6:7], -v[34:35]
	v_add_f64 v[68:69], v[44:45], v[40:41]
	v_add_f64 v[44:45], v[36:37], -v[44:45]
	v_add_f64 v[46:47], v[38:39], -v[46:47]
	v_add_f64 v[40:41], v[28:29], v[84:85]
	v_add_f64 v[42:43], v[30:31], v[88:89]
	v_mul_f64 v[28:29], v[76:77], s[4:5]
	v_mul_f64 v[30:31], v[110:111], s[4:5]
	;; [unrolled: 1-line block ×8, first 2 shown]
	s_mov_b32 s13, 0xbfd5d0dc
	s_mov_b32 s12, s18
	v_fma_f64 v[102:103], v[62:63], s[18:19], v[48:49]
	v_fma_f64 v[48:49], v[70:71], s[6:7], -v[48:49]
	v_fma_f64 v[60:61], v[60:61], s[12:13], -v[86:87]
	;; [unrolled: 1-line block ×3, first 2 shown]
	v_add_f64 v[70:71], v[92:93], v[64:65]
	v_add_f64 v[86:87], v[94:95], v[66:67]
	v_add_f64 v[90:91], v[96:97], v[64:65]
	v_add_f64 v[92:93], v[98:99], v[66:67]
	v_add_f64 v[64:65], v[50:51], v[64:65]
	v_add_f64 v[36:37], v[68:69], v[36:37]
	v_add_f64 v[38:39], v[80:81], v[38:39]
	v_fma_f64 v[50:51], v[84:85], s[16:17], v[40:41]
	v_fma_f64 v[68:69], v[88:89], s[16:17], v[42:43]
	v_fma_f64 v[28:29], v[56:57], s[20:21], -v[28:29]
	v_fma_f64 v[30:31], v[58:59], s[20:21], -v[30:31]
	;; [unrolled: 1-line block ×8, first 2 shown]
	v_add_f64 v[66:67], v[78:79], v[66:67]
	v_fma_f64 v[76:77], v[76:77], s[4:5], v[82:83]
	v_fma_f64 v[32:33], v[110:111], s[4:5], v[32:33]
	;; [unrolled: 1-line block ×4, first 2 shown]
	s_mov_b32 s6, 0x37c3f68c
	s_mov_b32 s7, 0x3fdc38aa
	v_fma_f64 v[96:97], v[74:75], s[6:7], v[102:103]
	v_fma_f64 v[98:99], v[72:73], s[6:7], v[100:101]
	;; [unrolled: 1-line block ×6, first 2 shown]
	v_add_f64 v[104:105], v[28:29], v[50:51]
	v_add_f64 v[106:107], v[30:31], v[68:69]
	;; [unrolled: 1-line block ×4, first 2 shown]
	v_fma_f64 v[114:115], v[36:37], s[6:7], v[80:81]
	v_fma_f64 v[112:113], v[38:39], s[6:7], v[84:85]
	;; [unrolled: 1-line block ×4, first 2 shown]
	s_barrier
	v_add_f64 v[44:45], v[76:77], v[50:51]
	v_add_f64 v[48:49], v[32:33], v[68:69]
	v_fma_f64 v[46:47], v[38:39], s[6:7], v[46:47]
	v_fma_f64 v[50:51], v[36:37], s[6:7], v[78:79]
	buffer_gl0_inv
	v_add_f64 v[56:57], v[70:71], v[96:97]
	v_add_f64 v[84:85], v[70:71], -v[96:97]
	v_add_f64 v[60:61], v[64:65], v[82:83]
	v_add_f64 v[62:63], v[66:67], -v[100:101]
	v_add_f64 v[72:73], v[90:91], -v[102:103]
	v_add_f64 v[74:75], v[34:35], v[92:93]
	v_add_f64 v[78:79], v[92:93], -v[34:35]
	;; [unrolled: 3-line block ×3, first 2 shown]
	v_add_f64 v[34:35], v[114:115], v[106:107]
	v_add_f64 v[28:29], v[108:109], v[112:113]
	v_add_f64 v[30:31], v[110:111], -v[88:89]
	v_add_f64 v[32:33], v[104:105], -v[94:95]
	v_add_f64 v[36:37], v[104:105], v[94:95]
	v_add_f64 v[38:39], v[106:107], -v[114:115]
	v_add_f64 v[64:65], v[108:109], -v[112:113]
	v_add_f64 v[66:67], v[88:89], v[110:111]
	v_add_f64 v[68:69], v[44:45], -v[46:47]
	v_add_f64 v[70:71], v[50:51], v[48:49]
	v_add_f64 v[76:77], v[90:91], v[102:103]
	v_mul_lo_u16 v90, v155, 7
	v_add_f64 v[86:87], v[98:99], v[86:87]
	v_and_b32_e32 v88, 0xffff, v90
	v_lshl_add_u32 v159, v88, 4, v156
	v_add_co_u32 v88, s4, v155, 21
	v_add_co_ci_u32_e64 v89, null, 0, 0, s4
	ds_write_b128 v159, v[52:55]
	ds_write_b128 v159, v[56:59] offset:16
	ds_write_b128 v159, v[60:63] offset:32
	v_mul_u32_u24_e32 v158, 7, v88
	ds_write_b128 v159, v[72:75] offset:48
	ds_write_b128 v159, v[76:79] offset:64
	;; [unrolled: 1-line block ×4, first 2 shown]
	s_and_saveexec_b32 s4, vcc_lo
	s_cbranch_execz .LBB0_7
; %bb.6:
	v_add_f64 v[48:49], v[48:49], -v[50:51]
	v_add_f64 v[46:47], v[44:45], v[46:47]
	v_lshl_add_u32 v44, v158, 4, v156
	ds_write_b128 v44, v[40:43]
	ds_write_b128 v44, v[28:31] offset:32
	ds_write_b128 v44, v[32:35] offset:48
	;; [unrolled: 1-line block ×6, first 2 shown]
.LBB0_7:
	s_or_b32 exec_lo, exec_lo, s4
	v_and_b32_e32 v40, 0xff, v155
	v_and_b32_e32 v41, 0xff, v88
	v_add_co_u32 v96, null, v155, 42
	v_mov_b32_e32 v48, 5
	v_mul_lo_u16 v40, v40, 37
	v_mul_lo_u16 v41, v41, 37
	v_and_b32_e32 v93, 0xff, v96
	s_waitcnt lgkmcnt(0)
	s_barrier
	v_lshrrev_b16 v40, 8, v40
	v_lshrrev_b16 v41, 8, v41
	v_mul_lo_u16 v43, v93, 37
	buffer_gl0_inv
	v_mul_lo_u16 v127, 0x87, v93
	v_sub_nc_u16 v42, v155, v40
	v_sub_nc_u16 v44, v88, v41
	v_lshrrev_b16 v43, 8, v43
	s_mov_b32 s4, 0xe8584caa
	v_lshrrev_b16 v127, 8, v127
	v_lshrrev_b16 v42, 1, v42
	;; [unrolled: 1-line block ×3, first 2 shown]
	v_sub_nc_u16 v45, v96, v43
	s_mov_b32 s5, 0x3febb67a
	v_sub_nc_u16 v128, v96, v127
	v_and_b32_e32 v42, 0x7f, v42
	s_mov_b32 s7, 0xbfebb67a
	s_mov_b32 s6, s4
	v_mov_b32_e32 v157, 21
	v_add_nc_u16 v40, v42, v40
	v_and_b32_e32 v42, 0x7f, v44
	v_lshrrev_b16 v44, 1, v45
	v_lshrrev_b16 v95, 2, v40
	v_add_nc_u16 v40, v42, v41
	v_and_b32_e32 v41, 0x7f, v44
	v_mul_lo_u16 v42, v95, 7
	v_lshrrev_b16 v143, 2, v40
	v_add_nc_u16 v40, v41, v43
	v_sub_nc_u16 v144, v155, v42
	v_mul_lo_u16 v41, v143, 7
	v_lshrrev_b16 v145, 2, v40
	v_mul_u32_u24_sdwa v143, v143, v157 dst_sel:DWORD dst_unused:UNUSED_PAD src0_sel:WORD_0 src1_sel:DWORD
	v_lshlrev_b16 v40, 1, v144
	v_sub_nc_u16 v146, v88, v41
	v_mul_lo_u16 v41, v145, 7
	v_mul_u32_u24_sdwa v145, v145, v157 dst_sel:DWORD dst_unused:UNUSED_PAD src0_sel:WORD_0 src1_sel:DWORD
	v_mad_u16 v95, v95, 21, v144
	v_and_b32_e32 v40, 0xfe, v40
	v_lshlrev_b32_sdwa v42, v48, v146 dst_sel:DWORD dst_unused:UNUSED_PAD src0_sel:DWORD src1_sel:BYTE_0
	v_sub_nc_u16 v147, v96, v41
	v_lshl_add_u32 v157, v155, 4, v156
	v_lshlrev_b32_e32 v49, 4, v40
	s_clause 0x1
	global_load_dwordx4 v[44:47], v42, s[0:1]
	global_load_dwordx4 v[40:43], v42, s[0:1] offset:16
	v_lshlrev_b32_sdwa v48, v48, v147 dst_sel:DWORD dst_unused:UNUSED_PAD src0_sel:DWORD src1_sel:BYTE_0
	s_clause 0x3
	global_load_dwordx4 v[60:63], v49, s[0:1]
	global_load_dwordx4 v[56:59], v49, s[0:1] offset:16
	global_load_dwordx4 v[52:55], v48, s[0:1]
	global_load_dwordx4 v[48:51], v48, s[0:1] offset:16
	ds_read_b128 v[72:75], v154 offset:1344
	ds_read_b128 v[76:79], v154 offset:2352
	;; [unrolled: 1-line block ×7, first 2 shown]
	s_waitcnt vmcnt(5) lgkmcnt(6)
	v_mul_f64 v[93:94], v[74:75], v[46:47]
	v_mul_f64 v[105:106], v[72:73], v[46:47]
	s_waitcnt vmcnt(3) lgkmcnt(4)
	v_mul_f64 v[109:110], v[82:83], v[62:63]
	s_waitcnt vmcnt(2) lgkmcnt(3)
	v_mul_f64 v[111:112], v[86:87], v[58:59]
	v_mul_f64 v[113:114], v[80:81], v[62:63]
	;; [unrolled: 1-line block ×5, first 2 shown]
	s_waitcnt vmcnt(1) lgkmcnt(2)
	v_mul_f64 v[119:120], v[91:92], v[54:55]
	v_mul_f64 v[121:122], v[89:90], v[54:55]
	s_waitcnt vmcnt(0) lgkmcnt(1)
	v_mul_f64 v[123:124], v[99:100], v[50:51]
	v_mul_f64 v[125:126], v[97:98], v[50:51]
	v_fma_f64 v[93:94], v[72:73], v[44:45], -v[93:94]
	v_fma_f64 v[105:106], v[74:75], v[44:45], v[105:106]
	v_fma_f64 v[80:81], v[80:81], v[60:61], -v[109:110]
	v_fma_f64 v[84:85], v[84:85], v[56:57], -v[111:112]
	v_fma_f64 v[82:83], v[82:83], v[60:61], v[113:114]
	v_fma_f64 v[86:87], v[86:87], v[56:57], v[115:116]
	v_fma_f64 v[107:108], v[76:77], v[40:41], -v[107:108]
	v_fma_f64 v[109:110], v[78:79], v[40:41], v[117:118]
	v_fma_f64 v[89:90], v[89:90], v[52:53], -v[119:120]
	;; [unrolled: 2-line block ×3, first 2 shown]
	v_fma_f64 v[99:100], v[99:100], v[48:49], v[125:126]
	v_lshrrev_b16 v76, 1, v128
	ds_read_b128 v[72:75], v154 offset:336
	v_and_b32_e32 v113, 0x7f, v76
	ds_read_b128 v[76:79], v154
	s_waitcnt lgkmcnt(0)
	s_barrier
	buffer_gl0_inv
	v_add_nc_u16 v119, v113, v127
	v_add_f64 v[113:114], v[80:81], v[84:85]
	v_add_f64 v[137:138], v[80:81], -v[84:85]
	v_add_f64 v[115:116], v[82:83], v[86:87]
	v_add_f64 v[111:112], v[93:94], v[107:108]
	;; [unrolled: 1-line block ×3, first 2 shown]
	v_lshrrev_b16 v123, 4, v119
	v_add_f64 v[127:128], v[101:102], v[89:90]
	v_add_f64 v[119:120], v[89:90], v[97:98]
	;; [unrolled: 1-line block ×4, first 2 shown]
	v_add_f64 v[135:136], v[82:83], -v[86:87]
	v_and_b32_e32 v160, 15, v123
	v_add_f64 v[123:124], v[72:73], v[93:94]
	v_add_f64 v[131:132], v[76:77], v[80:81]
	;; [unrolled: 1-line block ×3, first 2 shown]
	v_add_f64 v[125:126], v[105:106], -v[109:110]
	v_add_f64 v[105:106], v[74:75], v[105:106]
	v_add_f64 v[93:94], v[93:94], -v[107:108]
	v_add_f64 v[139:140], v[91:92], -v[99:100]
	;; [unrolled: 1-line block ×3, first 2 shown]
	v_mul_lo_u16 v144, v160, 21
	v_fma_f64 v[113:114], v[113:114], -0.5, v[76:77]
	v_fma_f64 v[115:116], v[115:116], -0.5, v[78:79]
	;; [unrolled: 1-line block ×4, first 2 shown]
	v_add_f64 v[76:77], v[127:128], v[97:98]
	v_fma_f64 v[119:120], v[119:120], -0.5, v[101:102]
	v_fma_f64 v[121:122], v[121:122], -0.5, v[103:104]
	v_add_f64 v[78:79], v[129:130], v[99:100]
	v_add_f64 v[72:73], v[123:124], v[107:108]
	;; [unrolled: 1-line block ×5, first 2 shown]
	v_fma_f64 v[97:98], v[135:136], s[4:5], v[113:114]
	v_fma_f64 v[101:102], v[135:136], s[6:7], v[113:114]
	;; [unrolled: 1-line block ×12, first 2 shown]
	v_and_b32_e32 v94, 0xff, v95
	v_add_nc_u32_sdwa v95, v145, v147 dst_sel:DWORD dst_unused:UNUSED_PAD src0_sel:DWORD src1_sel:BYTE_0
	v_sub_nc_u16 v113, v96, v144
	v_add_nc_u32_sdwa v93, v143, v146 dst_sel:DWORD dst_unused:UNUSED_PAD src0_sel:DWORD src1_sel:BYTE_0
	v_lshlrev_b32_e32 v147, 5, v155
	v_lshl_add_u32 v162, v94, 4, v156
	v_lshl_add_u32 v160, v95, 4, v156
	v_and_b32_e32 v95, 0xff, v113
	v_lshl_add_u32 v161, v93, 4, v156
	ds_write_b128 v162, v[80:83]
	ds_write_b128 v162, v[97:100] offset:112
	ds_write_b128 v162, v[101:104] offset:224
	ds_write_b128 v161, v[72:75]
	ds_write_b128 v161, v[84:87] offset:112
	ds_write_b128 v161, v[89:92] offset:224
	;; [unrolled: 3-line block ×3, first 2 shown]
	s_waitcnt lgkmcnt(0)
	s_barrier
	buffer_gl0_inv
	s_clause 0x1
	global_load_dwordx4 v[76:79], v147, s[0:1] offset:224
	global_load_dwordx4 v[72:75], v147, s[0:1] offset:240
	v_lshlrev_b32_e32 v80, 5, v95
	s_clause 0x1
	global_load_dwordx4 v[84:87], v80, s[0:1] offset:224
	global_load_dwordx4 v[80:83], v80, s[0:1] offset:240
	ds_read_b128 v[89:92], v154 offset:1008
	ds_read_b128 v[97:100], v154 offset:2016
	;; [unrolled: 1-line block ×7, first 2 shown]
	s_waitcnt vmcnt(3) lgkmcnt(6)
	v_mul_f64 v[93:94], v[91:92], v[78:79]
	s_waitcnt vmcnt(2) lgkmcnt(5)
	v_mul_f64 v[121:122], v[99:100], v[74:75]
	v_mul_f64 v[123:124], v[89:90], v[78:79]
	;; [unrolled: 1-line block ×3, first 2 shown]
	s_waitcnt lgkmcnt(4)
	v_mul_f64 v[127:128], v[103:104], v[78:79]
	s_waitcnt lgkmcnt(3)
	v_mul_f64 v[129:130], v[107:108], v[74:75]
	v_mul_f64 v[131:132], v[101:102], v[78:79]
	;; [unrolled: 1-line block ×3, first 2 shown]
	s_waitcnt vmcnt(1) lgkmcnt(2)
	v_mul_f64 v[135:136], v[111:112], v[86:87]
	s_waitcnt vmcnt(0) lgkmcnt(1)
	v_mul_f64 v[137:138], v[115:116], v[82:83]
	v_mul_f64 v[139:140], v[109:110], v[86:87]
	v_mul_f64 v[141:142], v[113:114], v[82:83]
	v_fma_f64 v[93:94], v[89:90], v[76:77], -v[93:94]
	v_fma_f64 v[121:122], v[97:98], v[72:73], -v[121:122]
	v_fma_f64 v[123:124], v[91:92], v[76:77], v[123:124]
	v_fma_f64 v[125:126], v[99:100], v[72:73], v[125:126]
	v_fma_f64 v[101:102], v[101:102], v[76:77], -v[127:128]
	v_fma_f64 v[105:106], v[105:106], v[72:73], -v[129:130]
	v_fma_f64 v[103:104], v[103:104], v[76:77], v[131:132]
	v_fma_f64 v[107:108], v[107:108], v[72:73], v[133:134]
	;; [unrolled: 4-line block ×3, first 2 shown]
	ds_read_b128 v[89:92], v154
	ds_read_b128 v[97:100], v154 offset:336
	s_waitcnt lgkmcnt(0)
	s_barrier
	buffer_gl0_inv
	v_add_f64 v[127:128], v[93:94], v[121:122]
	v_add_f64 v[129:130], v[123:124], v[125:126]
	v_add_f64 v[141:142], v[123:124], -v[125:126]
	v_add_f64 v[131:132], v[101:102], v[105:106]
	v_add_f64 v[169:170], v[101:102], -v[105:106]
	v_add_f64 v[133:134], v[103:104], v[107:108]
	v_add_f64 v[163:164], v[117:118], v[109:110]
	;; [unrolled: 1-line block ×8, first 2 shown]
	v_add_f64 v[93:94], v[93:94], -v[121:122]
	v_add_f64 v[165:166], v[119:120], v[111:112]
	v_add_f64 v[167:168], v[103:104], -v[107:108]
	v_add_f64 v[171:172], v[111:112], -v[115:116]
	;; [unrolled: 1-line block ×3, first 2 shown]
	v_fma_f64 v[127:128], v[127:128], -0.5, v[89:90]
	v_fma_f64 v[129:130], v[129:130], -0.5, v[91:92]
	;; [unrolled: 1-line block ×4, first 2 shown]
	v_add_f64 v[101:102], v[163:164], v[113:114]
	v_fma_f64 v[135:136], v[135:136], -0.5, v[117:118]
	v_add_f64 v[89:90], v[139:140], v[121:122]
	v_fma_f64 v[137:138], v[137:138], -0.5, v[119:120]
	v_add_f64 v[91:92], v[123:124], v[125:126]
	v_add_f64 v[97:98], v[143:144], v[105:106]
	;; [unrolled: 1-line block ×3, first 2 shown]
	v_lshl_add_u32 v163, v95, 4, v156
	v_add_f64 v[103:104], v[165:166], v[115:116]
	v_fma_f64 v[105:106], v[141:142], s[4:5], v[127:128]
	v_fma_f64 v[109:110], v[141:142], s[6:7], v[127:128]
	;; [unrolled: 1-line block ×12, first 2 shown]
	v_lshlrev_b32_e32 v129, 5, v88
	ds_write_b128 v154, v[89:92]
	ds_write_b128 v154, v[97:100] offset:1008
	ds_write_b128 v154, v[105:108] offset:336
	;; [unrolled: 1-line block ×8, first 2 shown]
	s_waitcnt lgkmcnt(0)
	s_barrier
	buffer_gl0_inv
	s_clause 0x1
	global_load_dwordx4 v[92:95], v147, s[0:1] offset:896
	global_load_dwordx4 v[88:91], v147, s[0:1] offset:912
	v_lshlrev_b32_e32 v104, 5, v96
	s_clause 0x3
	global_load_dwordx4 v[100:103], v129, s[0:1] offset:896
	global_load_dwordx4 v[96:99], v129, s[0:1] offset:912
	;; [unrolled: 1-line block ×4, first 2 shown]
	ds_read_b128 v[112:115], v154 offset:1008
	ds_read_b128 v[116:119], v154 offset:2016
	;; [unrolled: 1-line block ×7, first 2 shown]
	s_waitcnt vmcnt(5) lgkmcnt(6)
	v_mul_f64 v[140:141], v[114:115], v[94:95]
	s_waitcnt vmcnt(4) lgkmcnt(5)
	v_mul_f64 v[142:143], v[118:119], v[90:91]
	v_mul_f64 v[144:145], v[112:113], v[94:95]
	v_mul_f64 v[146:147], v[116:117], v[90:91]
	s_waitcnt vmcnt(3) lgkmcnt(4)
	v_mul_f64 v[164:165], v[122:123], v[102:103]
	s_waitcnt vmcnt(2) lgkmcnt(3)
	v_mul_f64 v[166:167], v[126:127], v[98:99]
	v_mul_f64 v[168:169], v[120:121], v[102:103]
	v_mul_f64 v[170:171], v[124:125], v[98:99]
	;; [unrolled: 6-line block ×3, first 2 shown]
	v_fma_f64 v[140:141], v[112:113], v[92:93], -v[140:141]
	v_fma_f64 v[142:143], v[116:117], v[88:89], -v[142:143]
	v_fma_f64 v[144:145], v[114:115], v[92:93], v[144:145]
	v_fma_f64 v[146:147], v[118:119], v[88:89], v[146:147]
	v_fma_f64 v[120:121], v[120:121], v[100:101], -v[164:165]
	v_fma_f64 v[164:165], v[124:125], v[96:97], -v[166:167]
	v_fma_f64 v[122:123], v[122:123], v[100:101], v[168:169]
	v_fma_f64 v[166:167], v[126:127], v[96:97], v[170:171]
	;; [unrolled: 4-line block ×3, first 2 shown]
	ds_read_b128 v[112:115], v154
	ds_read_b128 v[116:119], v154 offset:336
	v_add_f64 v[128:129], v[140:141], v[142:143]
	v_add_f64 v[130:131], v[144:145], v[146:147]
	v_add_f64 v[178:179], v[144:145], -v[146:147]
	v_add_f64 v[168:169], v[120:121], v[164:165]
	v_add_f64 v[170:171], v[122:123], v[166:167]
	s_waitcnt lgkmcnt(2)
	v_add_f64 v[184:185], v[136:137], v[124:125]
	v_add_f64 v[172:173], v[124:125], v[132:133]
	s_waitcnt lgkmcnt(1)
	v_add_f64 v[176:177], v[112:113], v[140:141]
	v_add_f64 v[174:175], v[126:127], v[134:135]
	;; [unrolled: 1-line block ×3, first 2 shown]
	s_waitcnt lgkmcnt(0)
	v_add_f64 v[180:181], v[116:117], v[120:121]
	v_add_f64 v[182:183], v[118:119], v[122:123]
	;; [unrolled: 1-line block ×3, first 2 shown]
	v_add_f64 v[140:141], v[140:141], -v[142:143]
	v_add_f64 v[188:189], v[122:123], -v[166:167]
	;; [unrolled: 1-line block ×3, first 2 shown]
	v_fma_f64 v[112:113], v[128:129], -0.5, v[112:113]
	v_fma_f64 v[114:115], v[130:131], -0.5, v[114:115]
	;; [unrolled: 1-line block ×3, first 2 shown]
	v_add_f64 v[168:169], v[126:127], -v[134:135]
	v_fma_f64 v[118:119], v[170:171], -0.5, v[118:119]
	v_add_f64 v[130:131], v[184:185], v[132:133]
	v_fma_f64 v[170:171], v[172:173], -0.5, v[136:137]
	v_add_f64 v[172:173], v[124:125], -v[132:133]
	v_fma_f64 v[174:175], v[174:175], -0.5, v[138:139]
	v_add_f64 v[122:123], v[176:177], v[142:143]
	v_add_f64 v[124:125], v[144:145], v[146:147]
	;; [unrolled: 1-line block ×5, first 2 shown]
	v_fma_f64 v[134:135], v[178:179], s[4:5], v[112:113]
	v_fma_f64 v[138:139], v[178:179], s[6:7], v[112:113]
	;; [unrolled: 1-line block ×12, first 2 shown]
	v_add_co_u32 v120, s0, 0xbd0, v148
	v_add_co_ci_u32_e64 v121, s0, 0, v149, s0
	v_add_co_u32 v146, s0, 0x1000, v148
	ds_write_b128 v154, v[122:125]
	ds_write_b128 v157, v[126:129] offset:336
	ds_write_b128 v157, v[134:137] offset:1008
	;; [unrolled: 1-line block ×8, first 2 shown]
	s_waitcnt lgkmcnt(0)
	s_barrier
	buffer_gl0_inv
	s_clause 0x2
	global_load_dwordx4 v[122:125], v[150:151], off offset:976
	global_load_dwordx4 v[126:129], v[120:121], off offset:432
	;; [unrolled: 1-line block ×3, first 2 shown]
	v_add_co_ci_u32_e64 v147, s0, 0, v149, s0
	s_clause 0x3
	global_load_dwordx4 v[134:137], v[120:121], off offset:1296
	global_load_dwordx4 v[138:141], v[120:121], off offset:1728
	;; [unrolled: 1-line block ×4, first 2 shown]
	ds_read_b128 v[168:171], v154
	ds_read_b128 v[172:175], v154 offset:432
	ds_read_b128 v[176:179], v154 offset:864
	;; [unrolled: 1-line block ×6, first 2 shown]
	s_waitcnt vmcnt(6) lgkmcnt(6)
	v_mul_f64 v[146:147], v[170:171], v[124:125]
	v_mul_f64 v[124:125], v[168:169], v[124:125]
	s_waitcnt vmcnt(5) lgkmcnt(5)
	v_mul_f64 v[196:197], v[174:175], v[128:129]
	v_mul_f64 v[128:129], v[172:173], v[128:129]
	;; [unrolled: 3-line block ×7, first 2 shown]
	v_fma_f64 v[144:145], v[168:169], v[122:123], -v[146:147]
	v_fma_f64 v[146:147], v[170:171], v[122:123], v[124:125]
	v_fma_f64 v[122:123], v[172:173], v[126:127], -v[196:197]
	v_fma_f64 v[124:125], v[174:175], v[126:127], v[128:129]
	;; [unrolled: 2-line block ×7, first 2 shown]
	ds_write_b128 v154, v[144:147]
	ds_write_b128 v154, v[122:125] offset:432
	ds_write_b128 v154, v[126:129] offset:864
	;; [unrolled: 1-line block ×6, first 2 shown]
	s_and_saveexec_b32 s1, vcc_lo
	s_cbranch_execz .LBB0_9
; %bb.8:
	s_clause 0x1
	global_load_dwordx4 v[122:125], v[120:121], off offset:336
	global_load_dwordx4 v[126:129], v[120:121], off offset:768
	v_add_co_u32 v146, s0, 0x800, v120
	v_add_co_ci_u32_e64 v147, s0, 0, v121, s0
	s_clause 0x4
	global_load_dwordx4 v[130:133], v[120:121], off offset:1200
	global_load_dwordx4 v[134:137], v[120:121], off offset:1632
	;; [unrolled: 1-line block ×5, first 2 shown]
	ds_read_b128 v[168:171], v157 offset:336
	ds_read_b128 v[172:175], v157 offset:768
	;; [unrolled: 1-line block ×7, first 2 shown]
	s_waitcnt vmcnt(6) lgkmcnt(6)
	v_mul_f64 v[120:121], v[170:171], v[124:125]
	v_mul_f64 v[124:125], v[168:169], v[124:125]
	s_waitcnt vmcnt(5) lgkmcnt(5)
	v_mul_f64 v[146:147], v[174:175], v[128:129]
	v_mul_f64 v[128:129], v[172:173], v[128:129]
	;; [unrolled: 3-line block ×7, first 2 shown]
	v_fma_f64 v[120:121], v[168:169], v[122:123], -v[120:121]
	v_fma_f64 v[122:123], v[170:171], v[122:123], v[124:125]
	v_fma_f64 v[124:125], v[172:173], v[126:127], -v[146:147]
	v_fma_f64 v[126:127], v[174:175], v[126:127], v[128:129]
	;; [unrolled: 2-line block ×7, first 2 shown]
	ds_write_b128 v157, v[120:123] offset:336
	ds_write_b128 v157, v[124:127] offset:768
	;; [unrolled: 1-line block ×7, first 2 shown]
.LBB0_9:
	s_or_b32 exec_lo, exec_lo, s1
	s_waitcnt lgkmcnt(0)
	s_barrier
	buffer_gl0_inv
	ds_read_b128 v[120:123], v154
	ds_read_b128 v[124:127], v154 offset:432
	ds_read_b128 v[140:143], v154 offset:864
	;; [unrolled: 1-line block ×6, first 2 shown]
	s_and_saveexec_b32 s0, vcc_lo
	s_cbranch_execz .LBB0_11
; %bb.10:
	ds_read_b128 v[112:115], v157 offset:336
	ds_read_b128 v[116:119], v157 offset:768
	;; [unrolled: 1-line block ×7, first 2 shown]
.LBB0_11:
	s_or_b32 exec_lo, exec_lo, s0
	s_waitcnt lgkmcnt(0)
	v_add_f64 v[164:165], v[124:125], v[136:137]
	v_add_f64 v[166:167], v[126:127], v[138:139]
	;; [unrolled: 1-line block ×4, first 2 shown]
	v_add_f64 v[140:141], v[140:141], -v[144:145]
	v_add_f64 v[142:143], v[142:143], -v[146:147]
	v_add_f64 v[144:145], v[128:129], v[132:133]
	v_add_f64 v[146:147], v[130:131], v[134:135]
	v_add_f64 v[128:129], v[132:133], -v[128:129]
	v_add_f64 v[130:131], v[134:135], -v[130:131]
	;; [unrolled: 1-line block ×4, first 2 shown]
	s_mov_b32 s6, 0x37e14327
	s_mov_b32 s14, 0xe976ee23
	;; [unrolled: 1-line block ×12, first 2 shown]
	v_add_f64 v[124:125], v[168:169], v[164:165]
	v_add_f64 v[126:127], v[170:171], v[166:167]
	s_mov_b32 s21, 0xbfd5d0dc
	s_mov_b32 s17, 0x3fe77f67
	v_add_f64 v[136:137], v[164:165], -v[144:145]
	v_add_f64 v[138:139], v[166:167], -v[146:147]
	;; [unrolled: 1-line block ×6, first 2 shown]
	v_add_f64 v[140:141], v[128:129], v[140:141]
	v_add_f64 v[142:143], v[130:131], v[142:143]
	v_add_f64 v[128:129], v[132:133], -v[128:129]
	v_add_f64 v[130:131], v[134:135], -v[130:131]
	s_mov_b32 s19, 0xbfe77f67
	s_mov_b32 s23, 0x3fd5d0dc
	;; [unrolled: 1-line block ×6, first 2 shown]
	s_barrier
	v_add_f64 v[180:181], v[144:145], v[124:125]
	v_add_f64 v[182:183], v[146:147], v[126:127]
	v_add_f64 v[144:145], v[144:145], -v[168:169]
	v_add_f64 v[146:147], v[146:147], -v[170:171]
	v_mul_f64 v[136:137], v[136:137], s[6:7]
	v_mul_f64 v[138:139], v[138:139], s[6:7]
	;; [unrolled: 1-line block ×6, first 2 shown]
	v_add_f64 v[132:133], v[140:141], v[132:133]
	v_add_f64 v[134:135], v[142:143], v[134:135]
	buffer_gl0_inv
	v_add_f64 v[124:125], v[120:121], v[180:181]
	v_add_f64 v[126:127], v[122:123], v[182:183]
	v_add_f64 v[120:121], v[168:169], -v[164:165]
	v_add_f64 v[122:123], v[170:171], -v[166:167]
	v_mul_f64 v[164:165], v[144:145], s[4:5]
	v_mul_f64 v[166:167], v[146:147], s[4:5]
	v_fma_f64 v[140:141], v[144:145], s[4:5], v[136:137]
	v_fma_f64 v[142:143], v[146:147], s[4:5], v[138:139]
	;; [unrolled: 1-line block ×4, first 2 shown]
	v_fma_f64 v[168:169], v[176:177], s[0:1], -v[172:173]
	v_fma_f64 v[170:171], v[178:179], s[0:1], -v[174:175]
	;; [unrolled: 1-line block ×4, first 2 shown]
	v_fma_f64 v[172:173], v[180:181], s[12:13], v[124:125]
	v_fma_f64 v[174:175], v[182:183], s[12:13], v[126:127]
	v_fma_f64 v[136:137], v[120:121], s[18:19], -v[136:137]
	v_fma_f64 v[138:139], v[122:123], s[18:19], -v[138:139]
	;; [unrolled: 1-line block ×4, first 2 shown]
	v_fma_f64 v[166:167], v[132:133], s[24:25], v[144:145]
	v_fma_f64 v[164:165], v[134:135], s[24:25], v[146:147]
	;; [unrolled: 1-line block ×6, first 2 shown]
	v_add_f64 v[176:177], v[140:141], v[172:173]
	v_add_f64 v[178:179], v[142:143], v[174:175]
	;; [unrolled: 1-line block ×7, first 2 shown]
	v_add_f64 v[130:131], v[178:179], -v[166:167]
	v_add_f64 v[132:133], v[180:181], v[170:171]
	v_add_f64 v[134:135], v[182:183], -v[168:169]
	v_add_f64 v[136:137], v[120:121], -v[146:147]
	v_add_f64 v[138:139], v[144:145], v[122:123]
	v_add_f64 v[140:141], v[120:121], v[146:147]
	v_add_f64 v[142:143], v[122:123], -v[144:145]
	v_add_f64 v[144:145], v[180:181], -v[170:171]
	v_add_f64 v[146:147], v[168:169], v[182:183]
	v_add_f64 v[164:165], v[176:177], -v[164:165]
	v_add_f64 v[166:167], v[166:167], v[178:179]
	v_add_nc_u32_e32 v121, 0x150, v154
	v_add_nc_u32_e32 v120, 0x2a0, v154
	ds_write_b128 v159, v[124:127]
	ds_write_b128 v159, v[128:131] offset:16
	ds_write_b128 v159, v[132:135] offset:32
	;; [unrolled: 1-line block ×6, first 2 shown]
	s_and_saveexec_b32 s26, vcc_lo
	s_cbranch_execz .LBB0_13
; %bb.12:
	v_add_f64 v[122:123], v[118:119], v[70:71]
	v_add_f64 v[124:125], v[30:31], v[66:67]
	;; [unrolled: 1-line block ×4, first 2 shown]
	v_add_f64 v[130:131], v[36:37], -v[32:33]
	v_add_f64 v[28:29], v[28:29], -v[64:65]
	v_add_f64 v[64:65], v[34:35], v[38:39]
	v_add_f64 v[32:33], v[32:33], v[36:37]
	v_add_f64 v[36:37], v[116:117], -v[68:69]
	v_add_f64 v[34:35], v[38:39], -v[34:35]
	;; [unrolled: 1-line block ×4, first 2 shown]
	v_add_f64 v[68:69], v[124:125], v[122:123]
	v_add_f64 v[66:67], v[128:129], v[126:127]
	v_add_f64 v[70:71], v[130:131], -v[28:29]
	v_add_f64 v[116:117], v[122:123], -v[64:65]
	;; [unrolled: 1-line block ×7, first 2 shown]
	v_add_f64 v[130:131], v[130:131], v[28:29]
	v_add_f64 v[140:141], v[34:35], v[30:31]
	v_add_f64 v[34:35], v[38:39], -v[34:35]
	v_add_f64 v[68:69], v[64:65], v[68:69]
	v_add_f64 v[64:65], v[64:65], -v[124:125]
	v_add_f64 v[66:67], v[32:33], v[66:67]
	v_add_f64 v[32:33], v[32:33], -v[128:129]
	v_mul_f64 v[70:71], v[70:71], s[14:15]
	v_mul_f64 v[116:117], v[116:117], s[6:7]
	;; [unrolled: 1-line block ×4, first 2 shown]
	v_add_f64 v[36:37], v[130:131], v[36:37]
	v_add_f64 v[38:39], v[140:141], v[38:39]
	;; [unrolled: 1-line block ×3, first 2 shown]
	v_add_f64 v[114:115], v[124:125], -v[122:123]
	v_mul_f64 v[122:123], v[64:65], s[4:5]
	v_mul_f64 v[124:125], v[134:135], s[14:15]
	v_add_f64 v[28:29], v[112:113], v[66:67]
	v_mul_f64 v[134:135], v[136:137], s[0:1]
	v_add_f64 v[112:113], v[128:129], -v[126:127]
	v_mul_f64 v[126:127], v[32:33], s[4:5]
	v_fma_f64 v[128:129], v[138:139], s[20:21], v[70:71]
	v_fma_f64 v[64:65], v[64:65], s[4:5], v[116:117]
	;; [unrolled: 1-line block ×3, first 2 shown]
	v_fma_f64 v[130:131], v[138:139], s[22:23], -v[142:143]
	v_fma_f64 v[70:71], v[132:133], s[0:1], -v[70:71]
	v_fma_f64 v[68:69], v[68:69], s[12:13], v[30:31]
	v_fma_f64 v[116:117], v[114:115], s[18:19], -v[116:117]
	v_fma_f64 v[114:115], v[114:115], s[16:17], -v[122:123]
	v_fma_f64 v[122:123], v[34:35], s[20:21], v[124:125]
	v_fma_f64 v[66:67], v[66:67], s[12:13], v[28:29]
	v_fma_f64 v[34:35], v[34:35], s[22:23], -v[134:135]
	v_fma_f64 v[118:119], v[112:113], s[18:19], -v[118:119]
	;; [unrolled: 1-line block ×4, first 2 shown]
	v_fma_f64 v[126:127], v[36:37], s[24:25], v[128:129]
	v_fma_f64 v[128:129], v[36:37], s[24:25], v[130:131]
	;; [unrolled: 1-line block ×3, first 2 shown]
	v_add_f64 v[64:65], v[64:65], v[68:69]
	v_add_f64 v[116:117], v[116:117], v[68:69]
	;; [unrolled: 1-line block ×3, first 2 shown]
	v_fma_f64 v[122:123], v[38:39], s[24:25], v[122:123]
	v_add_f64 v[32:33], v[32:33], v[66:67]
	v_fma_f64 v[130:131], v[38:39], s[24:25], v[34:35]
	v_add_f64 v[132:133], v[118:119], v[66:67]
	;; [unrolled: 2-line block ×3, first 2 shown]
	v_add_f64 v[118:119], v[64:65], -v[126:127]
	v_add_f64 v[38:39], v[128:129], v[116:117]
	v_add_f64 v[114:115], v[116:117], -v[128:129]
	v_add_f64 v[66:67], v[68:69], -v[36:37]
	v_add_f64 v[116:117], v[32:33], v[122:123]
	v_add_f64 v[70:71], v[36:37], v[68:69]
	;; [unrolled: 1-line block ×4, first 2 shown]
	v_add_f64 v[68:69], v[134:135], -v[124:125]
	v_add_f64 v[64:65], v[134:135], v[124:125]
	v_add_f64 v[36:37], v[132:133], -v[130:131]
	v_add_f64 v[32:33], v[32:33], -v[122:123]
	v_lshl_add_u32 v122, v158, 4, v156
	ds_write_b128 v122, v[28:31]
	ds_write_b128 v122, v[116:119] offset:16
	ds_write_b128 v122, v[112:115] offset:32
	;; [unrolled: 1-line block ×6, first 2 shown]
.LBB0_13:
	s_or_b32 exec_lo, exec_lo, s26
	s_waitcnt lgkmcnt(0)
	s_barrier
	buffer_gl0_inv
	ds_read_b128 v[28:31], v154 offset:1008
	ds_read_b128 v[32:35], v154 offset:2016
	ds_read_b128 v[36:39], v154 offset:1344
	ds_read_b128 v[64:67], v154 offset:2352
	ds_read_b128 v[68:71], v154 offset:1680
	ds_read_b128 v[112:115], v154 offset:2688
	ds_read_b128 v[116:119], v154 offset:672
	s_mov_b32 s0, 0xe8584caa
	s_mov_b32 s1, 0xbfebb67a
	;; [unrolled: 1-line block ×4, first 2 shown]
	s_waitcnt lgkmcnt(6)
	v_mul_f64 v[122:123], v[62:63], v[30:31]
	s_waitcnt lgkmcnt(5)
	v_mul_f64 v[124:125], v[58:59], v[34:35]
	v_mul_f64 v[62:63], v[62:63], v[28:29]
	v_mul_f64 v[58:59], v[58:59], v[32:33]
	s_waitcnt lgkmcnt(4)
	v_mul_f64 v[126:127], v[46:47], v[38:39]
	s_waitcnt lgkmcnt(3)
	v_mul_f64 v[128:129], v[42:43], v[66:67]
	v_mul_f64 v[46:47], v[46:47], v[36:37]
	v_mul_f64 v[42:43], v[42:43], v[64:65]
	;; [unrolled: 6-line block ×3, first 2 shown]
	v_fma_f64 v[122:123], v[60:61], v[28:29], v[122:123]
	v_fma_f64 v[124:125], v[56:57], v[32:33], v[124:125]
	v_fma_f64 v[60:61], v[60:61], v[30:31], -v[62:63]
	v_fma_f64 v[56:57], v[56:57], v[34:35], -v[58:59]
	v_fma_f64 v[36:37], v[44:45], v[36:37], v[126:127]
	v_fma_f64 v[58:59], v[40:41], v[64:65], v[128:129]
	v_fma_f64 v[38:39], v[44:45], v[38:39], -v[46:47]
	v_fma_f64 v[40:41], v[40:41], v[66:67], -v[42:43]
	;; [unrolled: 4-line block ×3, first 2 shown]
	ds_read_b128 v[28:31], v154
	ds_read_b128 v[32:35], v154 offset:336
	s_waitcnt lgkmcnt(0)
	s_barrier
	buffer_gl0_inv
	v_add_f64 v[50:51], v[122:123], v[124:125]
	v_add_f64 v[52:53], v[60:61], v[56:57]
	v_add_f64 v[70:71], v[60:61], -v[56:57]
	v_add_f64 v[54:55], v[36:37], v[58:59]
	v_add_f64 v[132:133], v[36:37], -v[58:59]
	v_add_f64 v[62:63], v[38:39], v[40:41]
	v_add_f64 v[126:127], v[116:117], v[42:43]
	;; [unrolled: 1-line block ×7, first 2 shown]
	v_add_f64 v[122:123], v[122:123], -v[124:125]
	v_add_f64 v[112:113], v[32:33], v[36:37]
	v_add_f64 v[128:129], v[118:119], v[46:47]
	v_add_f64 v[130:131], v[38:39], -v[40:41]
	v_add_f64 v[134:135], v[46:47], -v[48:49]
	v_fma_f64 v[50:51], v[50:51], -0.5, v[28:29]
	v_fma_f64 v[52:53], v[52:53], -0.5, v[30:31]
	;; [unrolled: 1-line block ×4, first 2 shown]
	v_add_f64 v[36:37], v[126:127], v[44:45]
	v_fma_f64 v[64:65], v[64:65], -0.5, v[116:117]
	v_add_f64 v[116:117], v[42:43], -v[44:45]
	v_fma_f64 v[66:67], v[66:67], -0.5, v[118:119]
	v_add_f64 v[28:29], v[68:69], v[124:125]
	v_add_f64 v[30:31], v[60:61], v[56:57]
	;; [unrolled: 1-line block ×5, first 2 shown]
	v_fma_f64 v[40:41], v[70:71], s[0:1], v[50:51]
	v_fma_f64 v[44:45], v[70:71], s[4:5], v[50:51]
	;; [unrolled: 1-line block ×12, first 2 shown]
	ds_write_b128 v162, v[28:31]
	ds_write_b128 v162, v[40:43] offset:112
	ds_write_b128 v162, v[44:47] offset:224
	ds_write_b128 v161, v[32:35]
	ds_write_b128 v161, v[48:51] offset:112
	ds_write_b128 v161, v[52:55] offset:224
	ds_write_b128 v160, v[36:39]
	ds_write_b128 v160, v[56:59] offset:112
	ds_write_b128 v160, v[60:63] offset:224
	s_waitcnt lgkmcnt(0)
	s_barrier
	buffer_gl0_inv
	ds_read_b128 v[28:31], v154 offset:1008
	ds_read_b128 v[32:35], v154 offset:2016
	ds_read_b128 v[36:39], v154 offset:1344
	ds_read_b128 v[40:43], v154 offset:2352
	ds_read_b128 v[44:47], v154 offset:1680
	ds_read_b128 v[48:51], v154 offset:2688
	ds_read_b128 v[52:55], v154 offset:672
	s_waitcnt lgkmcnt(6)
	v_mul_f64 v[56:57], v[78:79], v[30:31]
	s_waitcnt lgkmcnt(5)
	v_mul_f64 v[58:59], v[74:75], v[34:35]
	v_mul_f64 v[60:61], v[78:79], v[28:29]
	v_mul_f64 v[62:63], v[74:75], v[32:33]
	s_waitcnt lgkmcnt(4)
	v_mul_f64 v[64:65], v[78:79], v[38:39]
	s_waitcnt lgkmcnt(3)
	v_mul_f64 v[66:67], v[74:75], v[42:43]
	v_mul_f64 v[68:69], v[78:79], v[36:37]
	v_mul_f64 v[70:71], v[74:75], v[40:41]
	;; [unrolled: 6-line block ×3, first 2 shown]
	v_fma_f64 v[56:57], v[76:77], v[28:29], v[56:57]
	v_fma_f64 v[58:59], v[72:73], v[32:33], v[58:59]
	v_fma_f64 v[60:61], v[76:77], v[30:31], -v[60:61]
	v_fma_f64 v[62:63], v[72:73], v[34:35], -v[62:63]
	v_fma_f64 v[36:37], v[76:77], v[36:37], v[64:65]
	v_fma_f64 v[40:41], v[72:73], v[40:41], v[66:67]
	v_fma_f64 v[38:39], v[76:77], v[38:39], -v[68:69]
	v_fma_f64 v[42:43], v[72:73], v[42:43], -v[70:71]
	;; [unrolled: 4-line block ×3, first 2 shown]
	ds_read_b128 v[28:31], v154
	ds_read_b128 v[32:35], v154 offset:336
	s_waitcnt lgkmcnt(0)
	s_barrier
	buffer_gl0_inv
	v_add_f64 v[64:65], v[56:57], v[58:59]
	v_add_f64 v[66:67], v[60:61], v[62:63]
	v_add_f64 v[78:79], v[60:61], -v[62:63]
	v_add_f64 v[68:69], v[36:37], v[40:41]
	v_add_f64 v[114:115], v[36:37], -v[40:41]
	v_add_f64 v[70:71], v[38:39], v[42:43]
	v_add_f64 v[84:85], v[52:53], v[44:45]
	;; [unrolled: 1-line block ×8, first 2 shown]
	v_add_f64 v[56:57], v[56:57], -v[58:59]
	v_add_f64 v[86:87], v[54:55], v[46:47]
	v_add_f64 v[112:113], v[38:39], -v[42:43]
	v_add_f64 v[116:117], v[46:47], -v[50:51]
	;; [unrolled: 1-line block ×3, first 2 shown]
	v_fma_f64 v[64:65], v[64:65], -0.5, v[28:29]
	v_fma_f64 v[66:67], v[66:67], -0.5, v[30:31]
	;; [unrolled: 1-line block ×4, first 2 shown]
	v_add_f64 v[36:37], v[84:85], v[48:49]
	v_fma_f64 v[72:73], v[72:73], -0.5, v[52:53]
	v_add_f64 v[28:29], v[76:77], v[58:59]
	v_fma_f64 v[74:75], v[74:75], -0.5, v[54:55]
	v_add_f64 v[30:31], v[60:61], v[62:63]
	v_add_f64 v[32:33], v[80:81], v[40:41]
	v_add_f64 v[34:35], v[82:83], v[42:43]
	v_add_f64 v[38:39], v[86:87], v[50:51]
	v_fma_f64 v[40:41], v[78:79], s[0:1], v[64:65]
	v_fma_f64 v[44:45], v[78:79], s[4:5], v[64:65]
	;; [unrolled: 1-line block ×12, first 2 shown]
	ds_write_b128 v154, v[28:31]
	ds_write_b128 v154, v[32:35] offset:1008
	ds_write_b128 v154, v[40:43] offset:336
	;; [unrolled: 1-line block ×8, first 2 shown]
	s_waitcnt lgkmcnt(0)
	s_barrier
	buffer_gl0_inv
	ds_read_b128 v[28:31], v154 offset:1008
	ds_read_b128 v[32:35], v154 offset:2016
	;; [unrolled: 1-line block ×7, first 2 shown]
	s_waitcnt lgkmcnt(6)
	v_mul_f64 v[56:57], v[94:95], v[30:31]
	s_waitcnt lgkmcnt(5)
	v_mul_f64 v[58:59], v[90:91], v[34:35]
	v_mul_f64 v[60:61], v[94:95], v[28:29]
	v_mul_f64 v[62:63], v[90:91], v[32:33]
	s_waitcnt lgkmcnt(4)
	v_mul_f64 v[64:65], v[102:103], v[38:39]
	s_waitcnt lgkmcnt(3)
	v_mul_f64 v[66:67], v[98:99], v[42:43]
	v_mul_f64 v[68:69], v[102:103], v[36:37]
	v_mul_f64 v[70:71], v[98:99], v[40:41]
	s_waitcnt lgkmcnt(2)
	v_mul_f64 v[72:73], v[110:111], v[46:47]
	s_waitcnt lgkmcnt(1)
	v_mul_f64 v[74:75], v[106:107], v[50:51]
	v_mul_f64 v[76:77], v[110:111], v[44:45]
	v_mul_f64 v[78:79], v[106:107], v[48:49]
	v_fma_f64 v[56:57], v[92:93], v[28:29], v[56:57]
	v_fma_f64 v[58:59], v[88:89], v[32:33], v[58:59]
	v_fma_f64 v[60:61], v[92:93], v[30:31], -v[60:61]
	v_fma_f64 v[62:63], v[88:89], v[34:35], -v[62:63]
	v_fma_f64 v[36:37], v[100:101], v[36:37], v[64:65]
	v_fma_f64 v[40:41], v[96:97], v[40:41], v[66:67]
	v_fma_f64 v[38:39], v[100:101], v[38:39], -v[68:69]
	v_fma_f64 v[42:43], v[96:97], v[42:43], -v[70:71]
	;; [unrolled: 4-line block ×3, first 2 shown]
	ds_read_b128 v[28:31], v154
	ds_read_b128 v[32:35], v154 offset:336
	v_add_f64 v[64:65], v[56:57], v[58:59]
	v_add_f64 v[66:67], v[60:61], v[62:63]
	v_add_f64 v[78:79], v[60:61], -v[62:63]
	v_add_f64 v[68:69], v[36:37], v[40:41]
	v_add_f64 v[90:91], v[36:37], -v[40:41]
	v_add_f64 v[70:71], v[38:39], v[42:43]
	s_waitcnt lgkmcnt(2)
	v_add_f64 v[84:85], v[52:53], v[44:45]
	v_add_f64 v[72:73], v[44:45], v[48:49]
	s_waitcnt lgkmcnt(1)
	v_add_f64 v[76:77], v[28:29], v[56:57]
	v_add_f64 v[74:75], v[46:47], v[50:51]
	;; [unrolled: 1-line block ×3, first 2 shown]
	s_waitcnt lgkmcnt(0)
	v_add_f64 v[80:81], v[32:33], v[36:37]
	v_add_f64 v[82:83], v[34:35], v[38:39]
	v_add_f64 v[56:57], v[56:57], -v[58:59]
	v_add_f64 v[86:87], v[54:55], v[46:47]
	v_add_f64 v[88:89], v[38:39], -v[42:43]
	v_add_f64 v[92:93], v[46:47], -v[50:51]
	;; [unrolled: 1-line block ×3, first 2 shown]
	v_fma_f64 v[64:65], v[64:65], -0.5, v[28:29]
	v_fma_f64 v[66:67], v[66:67], -0.5, v[30:31]
	;; [unrolled: 1-line block ×4, first 2 shown]
	v_add_f64 v[36:37], v[84:85], v[48:49]
	v_fma_f64 v[72:73], v[72:73], -0.5, v[52:53]
	v_add_f64 v[28:29], v[76:77], v[58:59]
	v_fma_f64 v[74:75], v[74:75], -0.5, v[54:55]
	v_add_f64 v[30:31], v[60:61], v[62:63]
	v_add_f64 v[32:33], v[80:81], v[40:41]
	;; [unrolled: 1-line block ×4, first 2 shown]
	v_fma_f64 v[40:41], v[78:79], s[0:1], v[64:65]
	v_fma_f64 v[44:45], v[78:79], s[4:5], v[64:65]
	v_fma_f64 v[42:43], v[56:57], s[4:5], v[66:67]
	v_fma_f64 v[46:47], v[56:57], s[0:1], v[66:67]
	v_fma_f64 v[48:49], v[88:89], s[0:1], v[68:69]
	v_fma_f64 v[52:53], v[88:89], s[4:5], v[68:69]
	v_fma_f64 v[50:51], v[90:91], s[4:5], v[70:71]
	v_fma_f64 v[54:55], v[90:91], s[0:1], v[70:71]
	v_fma_f64 v[56:57], v[92:93], s[0:1], v[72:73]
	v_fma_f64 v[60:61], v[92:93], s[4:5], v[72:73]
	v_fma_f64 v[58:59], v[94:95], s[4:5], v[74:75]
	v_fma_f64 v[62:63], v[94:95], s[0:1], v[74:75]
	v_mad_u64_u32 v[64:65], null, s10, v152, 0
	v_mad_u64_u32 v[66:67], null, s8, v155, 0
	ds_write_b128 v154, v[28:31]
	ds_write_b128 v157, v[32:35] offset:336
	ds_write_b128 v157, v[40:43] offset:1008
	;; [unrolled: 1-line block ×8, first 2 shown]
	s_waitcnt lgkmcnt(0)
	s_barrier
	buffer_gl0_inv
	ds_read_b128 v[28:31], v154
	ds_read_b128 v[32:35], v154 offset:432
	ds_read_b128 v[36:39], v154 offset:864
	;; [unrolled: 1-line block ×6, first 2 shown]
	v_mad_u64_u32 v[56:57], null, s11, v152, v[65:66]
	v_mad_u64_u32 v[57:58], null, s9, v155, v[67:68]
	s_mul_i32 s0, s9, 27
	s_mul_hi_u32 s1, s8, 27
	s_mul_i32 s4, s8, 27
	s_add_i32 s5, s1, s0
	v_mov_b32_e32 v65, v56
	v_mov_b32_e32 v67, v57
	v_lshlrev_b64 v[56:57], 4, v[64:65]
	v_lshlrev_b64 v[58:59], 4, v[66:67]
	s_waitcnt lgkmcnt(6)
	v_mul_f64 v[60:61], v[2:3], v[30:31]
	v_mul_f64 v[62:63], v[2:3], v[28:29]
	s_waitcnt lgkmcnt(5)
	v_mul_f64 v[64:65], v[6:7], v[34:35]
	v_mul_f64 v[6:7], v[6:7], v[32:33]
	;; [unrolled: 3-line block ×7, first 2 shown]
	v_add_co_u32 v2, s0, s2, v56
	v_add_co_ci_u32_e64 v3, s0, s3, v57, s0
	s_lshl_b64 s[2:3], s[4:5], 4
	v_add_co_u32 v56, s0, v2, v58
	v_add_co_ci_u32_e64 v57, s0, v3, v59, s0
	v_fma_f64 v[28:29], v[0:1], v[28:29], v[60:61]
	v_fma_f64 v[0:1], v[0:1], v[30:31], -v[62:63]
	v_fma_f64 v[30:31], v[4:5], v[32:33], v[64:65]
	v_fma_f64 v[32:33], v[4:5], v[34:35], -v[6:7]
	;; [unrolled: 2-line block ×7, first 2 shown]
	v_add_co_u32 v54, s0, v56, s2
	v_add_co_ci_u32_e64 v55, s0, s3, v57, s0
	s_mov_b32 s4, 0x6b015ac0
	v_add_co_u32 v58, s0, v54, s2
	v_add_co_ci_u32_e64 v59, s0, s3, v55, s0
	s_mov_b32 s5, 0x3f75ac05
	v_mul_f64 v[4:5], v[28:29], s[4:5]
	v_mul_f64 v[6:7], v[0:1], s[4:5]
	v_mul_f64 v[10:11], v[32:33], s[4:5]
	v_add_co_u32 v32, s0, v58, s2
	v_mul_f64 v[8:9], v[30:31], s[4:5]
	v_mul_f64 v[12:13], v[34:35], s[4:5]
	;; [unrolled: 1-line block ×3, first 2 shown]
	v_add_co_ci_u32_e64 v33, s0, s3, v59, s0
	v_mul_f64 v[16:17], v[38:39], s[4:5]
	v_mul_f64 v[18:19], v[40:41], s[4:5]
	;; [unrolled: 1-line block ×6, first 2 shown]
	v_add_co_u32 v34, s0, v32, s2
	v_mul_f64 v[28:29], v[50:51], s[4:5]
	v_mul_f64 v[30:31], v[52:53], s[4:5]
	v_add_co_ci_u32_e64 v35, s0, s3, v33, s0
	v_add_co_u32 v36, s0, v34, s2
	v_add_co_ci_u32_e64 v37, s0, s3, v35, s0
	v_add_co_u32 v0, s0, v36, s2
	v_add_co_ci_u32_e64 v1, s0, s3, v37, s0
	global_store_dwordx4 v[56:57], v[4:7], off
	global_store_dwordx4 v[54:55], v[8:11], off
	;; [unrolled: 1-line block ×7, first 2 shown]
	s_and_b32 exec_lo, exec_lo, vcc_lo
	s_cbranch_execz .LBB0_15
; %bb.14:
	s_clause 0x5
	global_load_dwordx4 v[4:7], v[148:149], off offset:336
	global_load_dwordx4 v[8:11], v[148:149], off offset:768
	;; [unrolled: 1-line block ×6, first 2 shown]
	ds_read_b128 v[28:31], v157 offset:336
	ds_read_b128 v[32:35], v154 offset:768
	;; [unrolled: 1-line block ×6, first 2 shown]
	v_mad_u64_u32 v[0:1], null, 0xfffff730, s8, v[0:1]
	s_mul_i32 s0, s9, 0xfffff730
	v_mad_u64_u32 v[56:57], null, s8, v153, 0
	s_sub_i32 s0, s0, s8
	ds_read_b128 v[52:55], v154 offset:2928
	v_add_nc_u32_e32 v1, s0, v1
	v_mad_u64_u32 v[70:71], null, 0x360, s8, v[0:1]
	s_waitcnt vmcnt(5) lgkmcnt(6)
	v_mul_f64 v[58:59], v[30:31], v[6:7]
	v_mul_f64 v[6:7], v[28:29], v[6:7]
	s_waitcnt vmcnt(4) lgkmcnt(5)
	v_mul_f64 v[60:61], v[34:35], v[10:11]
	v_mul_f64 v[10:11], v[32:33], v[10:11]
	;; [unrolled: 3-line block ×6, first 2 shown]
	v_fma_f64 v[28:29], v[28:29], v[4:5], v[58:59]
	v_fma_f64 v[6:7], v[4:5], v[30:31], -v[6:7]
	v_fma_f64 v[30:31], v[32:33], v[8:9], v[60:61]
	v_fma_f64 v[10:11], v[8:9], v[34:35], -v[10:11]
	;; [unrolled: 2-line block ×6, first 2 shown]
	v_mad_u64_u32 v[72:73], null, s9, v153, v[57:58]
	v_mov_b32_e32 v57, v71
	v_mad_u64_u32 v[4:5], null, 0x360, s9, v[57:58]
	v_mov_b32_e32 v57, v72
	v_mul_f64 v[6:7], v[6:7], s[4:5]
	v_mul_f64 v[8:9], v[30:31], s[4:5]
	;; [unrolled: 1-line block ×4, first 2 shown]
	v_mov_b32_e32 v71, v4
	v_mul_f64 v[4:5], v[28:29], s[4:5]
	v_mul_f64 v[14:15], v[14:15], s[4:5]
	;; [unrolled: 1-line block ×8, first 2 shown]
	v_add_co_u32 v28, vcc_lo, v70, s2
	v_add_co_ci_u32_e32 v29, vcc_lo, s3, v71, vcc_lo
	v_lshlrev_b64 v[30:31], 4, v[56:57]
	v_add_co_u32 v32, vcc_lo, v28, s2
	v_add_co_ci_u32_e32 v33, vcc_lo, s3, v29, vcc_lo
	v_add_co_u32 v2, vcc_lo, v2, v30
	v_add_co_ci_u32_e32 v3, vcc_lo, v3, v31, vcc_lo
	;; [unrolled: 2-line block ×3, first 2 shown]
	global_store_dwordx4 v[0:1], v[4:7], off
	global_store_dwordx4 v[2:3], v[8:11], off
	;; [unrolled: 1-line block ×6, first 2 shown]
	global_load_dwordx4 v[0:3], v[150:151], off offset:880
	s_waitcnt vmcnt(0) lgkmcnt(0)
	v_mul_f64 v[4:5], v[54:55], v[2:3]
	v_mul_f64 v[2:3], v[52:53], v[2:3]
	v_fma_f64 v[4:5], v[52:53], v[0:1], v[4:5]
	v_fma_f64 v[2:3], v[0:1], v[54:55], -v[2:3]
	v_mul_f64 v[0:1], v[4:5], s[4:5]
	v_mul_f64 v[2:3], v[2:3], s[4:5]
	v_add_co_u32 v4, vcc_lo, v30, s2
	v_add_co_ci_u32_e32 v5, vcc_lo, s3, v31, vcc_lo
	global_store_dwordx4 v[4:5], v[0:3], off
.LBB0_15:
	s_endpgm
	.section	.rodata,"a",@progbits
	.p2align	6, 0x0
	.amdhsa_kernel bluestein_single_back_len189_dim1_dp_op_CI_CI
		.amdhsa_group_segment_fixed_size 9072
		.amdhsa_private_segment_fixed_size 0
		.amdhsa_kernarg_size 104
		.amdhsa_user_sgpr_count 6
		.amdhsa_user_sgpr_private_segment_buffer 1
		.amdhsa_user_sgpr_dispatch_ptr 0
		.amdhsa_user_sgpr_queue_ptr 0
		.amdhsa_user_sgpr_kernarg_segment_ptr 1
		.amdhsa_user_sgpr_dispatch_id 0
		.amdhsa_user_sgpr_flat_scratch_init 0
		.amdhsa_user_sgpr_private_segment_size 0
		.amdhsa_wavefront_size32 1
		.amdhsa_uses_dynamic_stack 0
		.amdhsa_system_sgpr_private_segment_wavefront_offset 0
		.amdhsa_system_sgpr_workgroup_id_x 1
		.amdhsa_system_sgpr_workgroup_id_y 0
		.amdhsa_system_sgpr_workgroup_id_z 0
		.amdhsa_system_sgpr_workgroup_info 0
		.amdhsa_system_vgpr_workitem_id 0
		.amdhsa_next_free_vgpr 212
		.amdhsa_next_free_sgpr 27
		.amdhsa_reserve_vcc 1
		.amdhsa_reserve_flat_scratch 0
		.amdhsa_float_round_mode_32 0
		.amdhsa_float_round_mode_16_64 0
		.amdhsa_float_denorm_mode_32 3
		.amdhsa_float_denorm_mode_16_64 3
		.amdhsa_dx10_clamp 1
		.amdhsa_ieee_mode 1
		.amdhsa_fp16_overflow 0
		.amdhsa_workgroup_processor_mode 1
		.amdhsa_memory_ordered 1
		.amdhsa_forward_progress 0
		.amdhsa_shared_vgpr_count 0
		.amdhsa_exception_fp_ieee_invalid_op 0
		.amdhsa_exception_fp_denorm_src 0
		.amdhsa_exception_fp_ieee_div_zero 0
		.amdhsa_exception_fp_ieee_overflow 0
		.amdhsa_exception_fp_ieee_underflow 0
		.amdhsa_exception_fp_ieee_inexact 0
		.amdhsa_exception_int_div_zero 0
	.end_amdhsa_kernel
	.text
.Lfunc_end0:
	.size	bluestein_single_back_len189_dim1_dp_op_CI_CI, .Lfunc_end0-bluestein_single_back_len189_dim1_dp_op_CI_CI
                                        ; -- End function
	.section	.AMDGPU.csdata,"",@progbits
; Kernel info:
; codeLenInByte = 12352
; NumSgprs: 29
; NumVgprs: 212
; ScratchSize: 0
; MemoryBound: 0
; FloatMode: 240
; IeeeMode: 1
; LDSByteSize: 9072 bytes/workgroup (compile time only)
; SGPRBlocks: 3
; VGPRBlocks: 26
; NumSGPRsForWavesPerEU: 29
; NumVGPRsForWavesPerEU: 212
; Occupancy: 4
; WaveLimiterHint : 1
; COMPUTE_PGM_RSRC2:SCRATCH_EN: 0
; COMPUTE_PGM_RSRC2:USER_SGPR: 6
; COMPUTE_PGM_RSRC2:TRAP_HANDLER: 0
; COMPUTE_PGM_RSRC2:TGID_X_EN: 1
; COMPUTE_PGM_RSRC2:TGID_Y_EN: 0
; COMPUTE_PGM_RSRC2:TGID_Z_EN: 0
; COMPUTE_PGM_RSRC2:TIDIG_COMP_CNT: 0
	.text
	.p2alignl 6, 3214868480
	.fill 48, 4, 3214868480
	.type	__hip_cuid_81618eaecf22b6b2,@object ; @__hip_cuid_81618eaecf22b6b2
	.section	.bss,"aw",@nobits
	.globl	__hip_cuid_81618eaecf22b6b2
__hip_cuid_81618eaecf22b6b2:
	.byte	0                               ; 0x0
	.size	__hip_cuid_81618eaecf22b6b2, 1

	.ident	"AMD clang version 19.0.0git (https://github.com/RadeonOpenCompute/llvm-project roc-6.4.0 25133 c7fe45cf4b819c5991fe208aaa96edf142730f1d)"
	.section	".note.GNU-stack","",@progbits
	.addrsig
	.addrsig_sym __hip_cuid_81618eaecf22b6b2
	.amdgpu_metadata
---
amdhsa.kernels:
  - .args:
      - .actual_access:  read_only
        .address_space:  global
        .offset:         0
        .size:           8
        .value_kind:     global_buffer
      - .actual_access:  read_only
        .address_space:  global
        .offset:         8
        .size:           8
        .value_kind:     global_buffer
      - .actual_access:  read_only
        .address_space:  global
        .offset:         16
        .size:           8
        .value_kind:     global_buffer
      - .actual_access:  read_only
        .address_space:  global
        .offset:         24
        .size:           8
        .value_kind:     global_buffer
      - .actual_access:  read_only
        .address_space:  global
        .offset:         32
        .size:           8
        .value_kind:     global_buffer
      - .offset:         40
        .size:           8
        .value_kind:     by_value
      - .address_space:  global
        .offset:         48
        .size:           8
        .value_kind:     global_buffer
      - .address_space:  global
        .offset:         56
        .size:           8
        .value_kind:     global_buffer
      - .address_space:  global
        .offset:         64
        .size:           8
        .value_kind:     global_buffer
      - .address_space:  global
        .offset:         72
        .size:           8
        .value_kind:     global_buffer
      - .offset:         80
        .size:           4
        .value_kind:     by_value
      - .address_space:  global
        .offset:         88
        .size:           8
        .value_kind:     global_buffer
      - .address_space:  global
        .offset:         96
        .size:           8
        .value_kind:     global_buffer
    .group_segment_fixed_size: 9072
    .kernarg_segment_align: 8
    .kernarg_segment_size: 104
    .language:       OpenCL C
    .language_version:
      - 2
      - 0
    .max_flat_workgroup_size: 63
    .name:           bluestein_single_back_len189_dim1_dp_op_CI_CI
    .private_segment_fixed_size: 0
    .sgpr_count:     29
    .sgpr_spill_count: 0
    .symbol:         bluestein_single_back_len189_dim1_dp_op_CI_CI.kd
    .uniform_work_group_size: 1
    .uses_dynamic_stack: false
    .vgpr_count:     212
    .vgpr_spill_count: 0
    .wavefront_size: 32
    .workgroup_processor_mode: 1
amdhsa.target:   amdgcn-amd-amdhsa--gfx1030
amdhsa.version:
  - 1
  - 2
...

	.end_amdgpu_metadata
